;; amdgpu-corpus repo=ROCm/rocFFT kind=compiled arch=gfx906 opt=O3
	.text
	.amdgcn_target "amdgcn-amd-amdhsa--gfx906"
	.amdhsa_code_object_version 6
	.protected	fft_rtc_back_len612_factors_17_3_6_2_wgs_51_tpt_51_halfLds_sp_op_CI_CI_sbrr_dirReg ; -- Begin function fft_rtc_back_len612_factors_17_3_6_2_wgs_51_tpt_51_halfLds_sp_op_CI_CI_sbrr_dirReg
	.globl	fft_rtc_back_len612_factors_17_3_6_2_wgs_51_tpt_51_halfLds_sp_op_CI_CI_sbrr_dirReg
	.p2align	8
	.type	fft_rtc_back_len612_factors_17_3_6_2_wgs_51_tpt_51_halfLds_sp_op_CI_CI_sbrr_dirReg,@function
fft_rtc_back_len612_factors_17_3_6_2_wgs_51_tpt_51_halfLds_sp_op_CI_CI_sbrr_dirReg: ; @fft_rtc_back_len612_factors_17_3_6_2_wgs_51_tpt_51_halfLds_sp_op_CI_CI_sbrr_dirReg
; %bb.0:
	s_load_dwordx4 s[16:19], s[4:5], 0x18
	s_load_dwordx4 s[12:15], s[4:5], 0x0
	;; [unrolled: 1-line block ×3, first 2 shown]
	v_mul_u32_u24_e32 v1, 0x506, v0
	v_mov_b32_e32 v3, 0
	s_waitcnt lgkmcnt(0)
	s_load_dwordx2 s[22:23], s[16:17], 0x0
	s_load_dwordx2 s[20:21], s[18:19], 0x0
	v_cmp_lt_u64_e64 s[0:1], s[14:15], 2
	v_mov_b32_e32 v41, 0
	v_add_u32_sdwa v7, s6, v1 dst_sel:DWORD dst_unused:UNUSED_PAD src0_sel:DWORD src1_sel:WORD_1
	v_mov_b32_e32 v8, v3
	s_and_b64 vcc, exec, s[0:1]
	v_mov_b32_e32 v42, 0
	s_cbranch_vccnz .LBB0_8
; %bb.1:
	s_load_dwordx2 s[0:1], s[4:5], 0x10
	s_add_u32 s2, s18, 8
	s_addc_u32 s3, s19, 0
	s_add_u32 s6, s16, 8
	s_addc_u32 s7, s17, 0
	v_mov_b32_e32 v41, 0
	s_waitcnt lgkmcnt(0)
	s_add_u32 s24, s0, 8
	v_mov_b32_e32 v42, 0
	v_mov_b32_e32 v1, v41
	s_addc_u32 s25, s1, 0
	s_mov_b64 s[26:27], 1
	v_mov_b32_e32 v2, v42
.LBB0_2:                                ; =>This Inner Loop Header: Depth=1
	s_load_dwordx2 s[28:29], s[24:25], 0x0
                                        ; implicit-def: $vgpr5_vgpr6
	s_waitcnt lgkmcnt(0)
	v_or_b32_e32 v4, s29, v8
	v_cmp_ne_u64_e32 vcc, 0, v[3:4]
	s_and_saveexec_b64 s[0:1], vcc
	s_xor_b64 s[30:31], exec, s[0:1]
	s_cbranch_execz .LBB0_4
; %bb.3:                                ;   in Loop: Header=BB0_2 Depth=1
	v_cvt_f32_u32_e32 v4, s28
	v_cvt_f32_u32_e32 v5, s29
	s_sub_u32 s0, 0, s28
	s_subb_u32 s1, 0, s29
	v_mac_f32_e32 v4, 0x4f800000, v5
	v_rcp_f32_e32 v4, v4
	v_mul_f32_e32 v4, 0x5f7ffffc, v4
	v_mul_f32_e32 v5, 0x2f800000, v4
	v_trunc_f32_e32 v5, v5
	v_mac_f32_e32 v4, 0xcf800000, v5
	v_cvt_u32_f32_e32 v5, v5
	v_cvt_u32_f32_e32 v4, v4
	v_mul_lo_u32 v6, s0, v5
	v_mul_hi_u32 v9, s0, v4
	v_mul_lo_u32 v11, s1, v4
	v_mul_lo_u32 v10, s0, v4
	v_add_u32_e32 v6, v9, v6
	v_add_u32_e32 v6, v6, v11
	v_mul_hi_u32 v9, v4, v10
	v_mul_lo_u32 v11, v4, v6
	v_mul_hi_u32 v13, v4, v6
	v_mul_hi_u32 v12, v5, v10
	v_mul_lo_u32 v10, v5, v10
	v_mul_hi_u32 v14, v5, v6
	v_add_co_u32_e32 v9, vcc, v9, v11
	v_addc_co_u32_e32 v11, vcc, 0, v13, vcc
	v_mul_lo_u32 v6, v5, v6
	v_add_co_u32_e32 v9, vcc, v9, v10
	v_addc_co_u32_e32 v9, vcc, v11, v12, vcc
	v_addc_co_u32_e32 v10, vcc, 0, v14, vcc
	v_add_co_u32_e32 v6, vcc, v9, v6
	v_addc_co_u32_e32 v9, vcc, 0, v10, vcc
	v_add_co_u32_e32 v4, vcc, v4, v6
	v_addc_co_u32_e32 v5, vcc, v5, v9, vcc
	v_mul_lo_u32 v6, s0, v5
	v_mul_hi_u32 v9, s0, v4
	v_mul_lo_u32 v10, s1, v4
	v_mul_lo_u32 v11, s0, v4
	v_add_u32_e32 v6, v9, v6
	v_add_u32_e32 v6, v6, v10
	v_mul_lo_u32 v12, v4, v6
	v_mul_hi_u32 v13, v4, v11
	v_mul_hi_u32 v14, v4, v6
	;; [unrolled: 1-line block ×3, first 2 shown]
	v_mul_lo_u32 v11, v5, v11
	v_mul_hi_u32 v9, v5, v6
	v_add_co_u32_e32 v12, vcc, v13, v12
	v_addc_co_u32_e32 v13, vcc, 0, v14, vcc
	v_mul_lo_u32 v6, v5, v6
	v_add_co_u32_e32 v11, vcc, v12, v11
	v_addc_co_u32_e32 v10, vcc, v13, v10, vcc
	v_addc_co_u32_e32 v9, vcc, 0, v9, vcc
	v_add_co_u32_e32 v6, vcc, v10, v6
	v_addc_co_u32_e32 v9, vcc, 0, v9, vcc
	v_add_co_u32_e32 v6, vcc, v4, v6
	v_addc_co_u32_e32 v9, vcc, v5, v9, vcc
	v_mad_u64_u32 v[4:5], s[0:1], v7, v9, 0
	v_mul_hi_u32 v10, v7, v6
	v_add_co_u32_e32 v11, vcc, v10, v4
	v_addc_co_u32_e32 v12, vcc, 0, v5, vcc
	v_mad_u64_u32 v[4:5], s[0:1], v8, v6, 0
	v_mad_u64_u32 v[9:10], s[0:1], v8, v9, 0
	v_add_co_u32_e32 v4, vcc, v11, v4
	v_addc_co_u32_e32 v4, vcc, v12, v5, vcc
	v_addc_co_u32_e32 v5, vcc, 0, v10, vcc
	v_add_co_u32_e32 v9, vcc, v4, v9
	v_addc_co_u32_e32 v6, vcc, 0, v5, vcc
	v_mul_lo_u32 v10, s29, v9
	v_mul_lo_u32 v11, s28, v6
	v_mad_u64_u32 v[4:5], s[0:1], s28, v9, 0
	v_add3_u32 v5, v5, v11, v10
	v_sub_u32_e32 v10, v8, v5
	v_mov_b32_e32 v11, s29
	v_sub_co_u32_e32 v4, vcc, v7, v4
	v_subb_co_u32_e64 v10, s[0:1], v10, v11, vcc
	v_subrev_co_u32_e64 v11, s[0:1], s28, v4
	v_subbrev_co_u32_e64 v10, s[0:1], 0, v10, s[0:1]
	v_cmp_le_u32_e64 s[0:1], s29, v10
	v_cndmask_b32_e64 v12, 0, -1, s[0:1]
	v_cmp_le_u32_e64 s[0:1], s28, v11
	v_cndmask_b32_e64 v11, 0, -1, s[0:1]
	v_cmp_eq_u32_e64 s[0:1], s29, v10
	v_cndmask_b32_e64 v10, v12, v11, s[0:1]
	v_add_co_u32_e64 v11, s[0:1], 2, v9
	v_addc_co_u32_e64 v12, s[0:1], 0, v6, s[0:1]
	v_add_co_u32_e64 v13, s[0:1], 1, v9
	v_addc_co_u32_e64 v14, s[0:1], 0, v6, s[0:1]
	v_subb_co_u32_e32 v5, vcc, v8, v5, vcc
	v_cmp_ne_u32_e64 s[0:1], 0, v10
	v_cmp_le_u32_e32 vcc, s29, v5
	v_cndmask_b32_e64 v10, v14, v12, s[0:1]
	v_cndmask_b32_e64 v12, 0, -1, vcc
	v_cmp_le_u32_e32 vcc, s28, v4
	v_cndmask_b32_e64 v4, 0, -1, vcc
	v_cmp_eq_u32_e32 vcc, s29, v5
	v_cndmask_b32_e32 v4, v12, v4, vcc
	v_cmp_ne_u32_e32 vcc, 0, v4
	v_cndmask_b32_e64 v4, v13, v11, s[0:1]
	v_cndmask_b32_e32 v6, v6, v10, vcc
	v_cndmask_b32_e32 v5, v9, v4, vcc
.LBB0_4:                                ;   in Loop: Header=BB0_2 Depth=1
	s_andn2_saveexec_b64 s[0:1], s[30:31]
	s_cbranch_execz .LBB0_6
; %bb.5:                                ;   in Loop: Header=BB0_2 Depth=1
	v_cvt_f32_u32_e32 v4, s28
	s_sub_i32 s30, 0, s28
	v_rcp_iflag_f32_e32 v4, v4
	v_mul_f32_e32 v4, 0x4f7ffffe, v4
	v_cvt_u32_f32_e32 v4, v4
	v_mul_lo_u32 v5, s30, v4
	v_mul_hi_u32 v5, v4, v5
	v_add_u32_e32 v4, v4, v5
	v_mul_hi_u32 v4, v7, v4
	v_mul_lo_u32 v5, v4, s28
	v_add_u32_e32 v6, 1, v4
	v_sub_u32_e32 v5, v7, v5
	v_subrev_u32_e32 v9, s28, v5
	v_cmp_le_u32_e32 vcc, s28, v5
	v_cndmask_b32_e32 v5, v5, v9, vcc
	v_cndmask_b32_e32 v4, v4, v6, vcc
	v_add_u32_e32 v6, 1, v4
	v_cmp_le_u32_e32 vcc, s28, v5
	v_cndmask_b32_e32 v5, v4, v6, vcc
	v_mov_b32_e32 v6, v3
.LBB0_6:                                ;   in Loop: Header=BB0_2 Depth=1
	s_or_b64 exec, exec, s[0:1]
	v_mul_lo_u32 v4, v6, s28
	v_mul_lo_u32 v11, v5, s29
	v_mad_u64_u32 v[9:10], s[0:1], v5, s28, 0
	s_load_dwordx2 s[0:1], s[6:7], 0x0
	s_load_dwordx2 s[28:29], s[2:3], 0x0
	v_add3_u32 v4, v10, v11, v4
	v_sub_co_u32_e32 v7, vcc, v7, v9
	v_subb_co_u32_e32 v4, vcc, v8, v4, vcc
	s_waitcnt lgkmcnt(0)
	v_mul_lo_u32 v8, s0, v4
	v_mul_lo_u32 v9, s1, v7
	v_mad_u64_u32 v[41:42], s[0:1], s0, v7, v[41:42]
	s_add_u32 s26, s26, 1
	s_addc_u32 s27, s27, 0
	s_add_u32 s2, s2, 8
	v_mul_lo_u32 v4, s28, v4
	v_mul_lo_u32 v10, s29, v7
	v_mad_u64_u32 v[1:2], s[0:1], s28, v7, v[1:2]
	v_add3_u32 v42, v9, v42, v8
	s_addc_u32 s3, s3, 0
	v_mov_b32_e32 v7, s14
	s_add_u32 s6, s6, 8
	v_mov_b32_e32 v8, s15
	s_addc_u32 s7, s7, 0
	v_cmp_ge_u64_e32 vcc, s[26:27], v[7:8]
	s_add_u32 s24, s24, 8
	v_add3_u32 v2, v10, v2, v4
	s_addc_u32 s25, s25, 0
	s_cbranch_vccnz .LBB0_9
; %bb.7:                                ;   in Loop: Header=BB0_2 Depth=1
	v_mov_b32_e32 v8, v6
	v_mov_b32_e32 v7, v5
	s_branch .LBB0_2
.LBB0_8:
	v_mov_b32_e32 v1, v41
	v_mov_b32_e32 v5, v7
	;; [unrolled: 1-line block ×4, first 2 shown]
.LBB0_9:
	s_load_dwordx2 s[0:1], s[4:5], 0x28
	s_mov_b32 s4, 0x5050506
	v_mul_hi_u32 v3, v0, s4
	s_lshl_b64 s[2:3], s[14:15], 3
	s_add_u32 s4, s18, s2
	s_waitcnt lgkmcnt(0)
	v_cmp_gt_u64_e32 vcc, s[0:1], v[5:6]
	v_mul_u32_u24_e32 v3, 51, v3
	v_sub_u32_e32 v3, v0, v3
	v_cmp_gt_u32_e64 s[0:1], 36, v3
	s_addc_u32 s5, s19, s3
	s_and_b64 s[14:15], vcc, s[0:1]
	v_mov_b32_e32 v32, 0
	v_mov_b32_e32 v31, 0
                                        ; implicit-def: $vgpr38
                                        ; implicit-def: $vgpr34
                                        ; implicit-def: $vgpr28
                                        ; implicit-def: $vgpr24
                                        ; implicit-def: $vgpr20
                                        ; implicit-def: $vgpr16
                                        ; implicit-def: $vgpr12
                                        ; implicit-def: $vgpr8
                                        ; implicit-def: $vgpr14
                                        ; implicit-def: $vgpr40
                                        ; implicit-def: $vgpr36
                                        ; implicit-def: $vgpr30
                                        ; implicit-def: $vgpr26
                                        ; implicit-def: $vgpr22
                                        ; implicit-def: $vgpr18
                                        ; implicit-def: $vgpr10
	s_and_saveexec_b64 s[6:7], s[14:15]
	s_cbranch_execz .LBB0_11
; %bb.10:
	s_add_u32 s2, s16, s2
	s_addc_u32 s3, s17, s3
	s_load_dwordx2 s[2:3], s[2:3], 0x0
	v_mad_u64_u32 v[7:8], s[14:15], s22, v3, 0
	v_mov_b32_e32 v0, v8
	s_waitcnt lgkmcnt(0)
	v_mul_lo_u32 v4, s3, v5
	v_mul_lo_u32 v13, s2, v6
	v_mad_u64_u32 v[9:10], s[2:3], s2, v5, 0
	v_mad_u64_u32 v[11:12], s[2:3], s23, v3, v[0:1]
	v_add3_u32 v10, v10, v13, v4
	v_lshlrev_b64 v[9:10], 3, v[9:10]
	v_mov_b32_e32 v0, s9
	v_add_co_u32_e64 v4, s[2:3], s8, v9
	v_add_u32_e32 v13, 36, v3
	v_mov_b32_e32 v8, v11
	v_addc_co_u32_e64 v0, s[2:3], v0, v10, s[2:3]
	v_mad_u64_u32 v[11:12], s[2:3], s22, v13, 0
	v_lshlrev_b64 v[9:10], 3, v[41:42]
	v_lshlrev_b64 v[7:8], 3, v[7:8]
	v_add_co_u32_e64 v4, s[2:3], v4, v9
	v_addc_co_u32_e64 v15, s[2:3], v0, v10, s[2:3]
	v_mov_b32_e32 v0, v12
	v_mad_u64_u32 v[9:10], s[2:3], s23, v13, v[0:1]
	v_add_u32_e32 v10, 0x48, v3
	v_mad_u64_u32 v[13:14], s[2:3], s22, v10, 0
	v_add_co_u32_e64 v35, s[2:3], v4, v7
	v_mov_b32_e32 v12, v9
	v_mov_b32_e32 v0, v14
	v_addc_co_u32_e64 v36, s[2:3], v15, v8, s[2:3]
	v_lshlrev_b64 v[7:8], 3, v[11:12]
	v_mad_u64_u32 v[9:10], s[2:3], s23, v10, v[0:1]
	v_add_u32_e32 v12, 0x6c, v3
	v_mad_u64_u32 v[10:11], s[2:3], s22, v12, 0
	v_add_co_u32_e64 v39, s[2:3], v4, v7
	v_mov_b32_e32 v0, v11
	v_addc_co_u32_e64 v40, s[2:3], v15, v8, s[2:3]
	v_mov_b32_e32 v14, v9
	v_mad_u64_u32 v[11:12], s[2:3], s23, v12, v[0:1]
	v_add_u32_e32 v9, 0x90, v3
	v_lshlrev_b64 v[7:8], 3, v[13:14]
	v_mad_u64_u32 v[12:13], s[2:3], s22, v9, 0
	v_add_co_u32_e64 v41, s[2:3], v4, v7
	v_mov_b32_e32 v0, v13
	v_addc_co_u32_e64 v42, s[2:3], v15, v8, s[2:3]
	v_lshlrev_b64 v[7:8], 3, v[10:11]
	v_mad_u64_u32 v[9:10], s[2:3], s23, v9, v[0:1]
	v_add_u32_e32 v14, 0xb4, v3
	v_mad_u64_u32 v[10:11], s[2:3], s22, v14, 0
	v_add_co_u32_e64 v43, s[2:3], v4, v7
	v_mov_b32_e32 v13, v9
	v_mov_b32_e32 v0, v11
	v_addc_co_u32_e64 v44, s[2:3], v15, v8, s[2:3]
	v_lshlrev_b64 v[7:8], 3, v[12:13]
	v_mad_u64_u32 v[11:12], s[2:3], s23, v14, v[0:1]
	v_add_u32_e32 v9, 0xd8, v3
	v_mad_u64_u32 v[12:13], s[2:3], s22, v9, 0
	v_add_co_u32_e64 v45, s[2:3], v4, v7
	v_mov_b32_e32 v0, v13
	v_addc_co_u32_e64 v46, s[2:3], v15, v8, s[2:3]
	v_lshlrev_b64 v[7:8], 3, v[10:11]
	v_mad_u64_u32 v[9:10], s[2:3], s23, v9, v[0:1]
	v_add_u32_e32 v14, 0xfc, v3
	v_mad_u64_u32 v[10:11], s[2:3], s22, v14, 0
	v_add_co_u32_e64 v47, s[2:3], v4, v7
	v_mov_b32_e32 v13, v9
	v_mov_b32_e32 v0, v11
	v_addc_co_u32_e64 v48, s[2:3], v15, v8, s[2:3]
	v_lshlrev_b64 v[7:8], 3, v[12:13]
	v_mad_u64_u32 v[11:12], s[2:3], s23, v14, v[0:1]
	v_add_u32_e32 v9, 0x120, v3
	;; [unrolled: 15-line block ×5, first 2 shown]
	v_mad_u64_u32 v[12:13], s[2:3], s22, v9, 0
	v_add_co_u32_e64 v61, s[2:3], v4, v7
	v_mov_b32_e32 v0, v13
	v_addc_co_u32_e64 v62, s[2:3], v15, v8, s[2:3]
	v_lshlrev_b64 v[7:8], 3, v[10:11]
	v_mad_u64_u32 v[9:10], s[2:3], s23, v9, v[0:1]
	v_add_u32_e32 v14, 0x21c, v3
	v_mad_u64_u32 v[10:11], s[2:3], s22, v14, 0
	v_add_co_u32_e64 v63, s[2:3], v4, v7
	v_mov_b32_e32 v13, v9
	v_mov_b32_e32 v0, v11
	v_addc_co_u32_e64 v64, s[2:3], v15, v8, s[2:3]
	v_lshlrev_b64 v[7:8], 3, v[12:13]
	v_mad_u64_u32 v[11:12], s[2:3], s23, v14, v[0:1]
	v_or_b32_e32 v9, 0x240, v3
	v_mad_u64_u32 v[12:13], s[2:3], s22, v9, 0
	v_add_co_u32_e64 v65, s[2:3], v4, v7
	v_mov_b32_e32 v0, v13
	v_addc_co_u32_e64 v66, s[2:3], v15, v8, s[2:3]
	v_lshlrev_b64 v[7:8], 3, v[10:11]
	v_mad_u64_u32 v[9:10], s[2:3], s23, v9, v[0:1]
	v_add_co_u32_e64 v67, s[2:3], v4, v7
	v_mov_b32_e32 v13, v9
	v_addc_co_u32_e64 v68, s[2:3], v15, v8, s[2:3]
	v_lshlrev_b64 v[7:8], 3, v[12:13]
	v_add_co_u32_e64 v69, s[2:3], v4, v7
	v_addc_co_u32_e64 v70, s[2:3], v15, v8, s[2:3]
	global_load_dwordx2 v[31:32], v[35:36], off
	global_load_dwordx2 v[37:38], v[39:40], off
	;; [unrolled: 1-line block ×15, first 2 shown]
                                        ; kill: killed $vgpr39 killed $vgpr40
                                        ; kill: killed $vgpr63 killed $vgpr64
                                        ; kill: killed $vgpr53 killed $vgpr54
                                        ; kill: killed $vgpr43 killed $vgpr44
                                        ; kill: killed $vgpr57 killed $vgpr58
                                        ; kill: killed $vgpr47 killed $vgpr48
                                        ; kill: killed $vgpr35 killed $vgpr36
                                        ; kill: killed $vgpr61 killed $vgpr62
                                        ; kill: killed $vgpr51 killed $vgpr52
                                        ; kill: killed $vgpr41 killed $vgpr42
                                        ; kill: killed $vgpr65 killed $vgpr66
                                        ; kill: killed $vgpr55 killed $vgpr56
                                        ; kill: killed $vgpr45 killed $vgpr46
                                        ; kill: killed $vgpr59 killed $vgpr60
                                        ; kill: killed $vgpr49 killed $vgpr50
	global_load_dwordx2 v[35:36], v[67:68], off
	global_load_dwordx2 v[39:40], v[69:70], off
.LBB0_11:
	s_or_b64 exec, exec, s[6:7]
	s_and_saveexec_b64 s[2:3], s[0:1]
	s_cbranch_execz .LBB0_13
; %bb.12:
	s_waitcnt vmcnt(0)
	v_add_f32_e32 v61, v37, v39
	v_mul_f32_e32 v0, 0xbf7ba420, v61
	v_add_f32_e32 v62, v33, v35
	v_sub_f32_e32 v53, v38, v40
	v_mov_b32_e32 v4, v0
	v_mul_f32_e32 v42, 0x3f6eb680, v62
	v_fmac_f32_e32 v4, 0x3e3c28d5, v53
	v_sub_f32_e32 v56, v34, v36
	v_mov_b32_e32 v41, v42
	v_add_f32_e32 v63, v27, v29
	v_add_f32_e32 v4, v31, v4
	v_fmac_f32_e32 v41, 0xbeb8f4ab, v56
	v_mul_f32_e32 v43, 0xbf59a7d5, v63
	v_add_f32_e32 v4, v4, v41
	v_sub_f32_e32 v58, v28, v30
	v_mov_b32_e32 v41, v43
	v_add_f32_e32 v64, v23, v25
	v_fmac_f32_e32 v41, 0x3f06c442, v58
	v_mul_f32_e32 v44, 0x3f3d2fb0, v64
	v_add_f32_e32 v4, v4, v41
	v_sub_f32_e32 v59, v24, v26
	v_mov_b32_e32 v41, v44
	v_add_f32_e32 v65, v19, v21
	v_fmac_f32_e32 v41, 0xbf2c7751, v59
	v_mul_f32_e32 v45, 0xbf1a4643, v65
	v_add_f32_e32 v4, v4, v41
	v_sub_f32_e32 v60, v20, v22
	v_mov_b32_e32 v41, v45
	v_add_f32_e32 v66, v15, v17
	v_fmac_f32_e32 v41, 0x3f4c4adb, v60
	v_mul_f32_e32 v46, 0x3ee437d1, v66
	v_fmac_f32_e32 v0, 0xbe3c28d5, v53
	v_add_f32_e32 v4, v4, v41
	v_sub_f32_e32 v57, v16, v18
	v_mov_b32_e32 v41, v46
	v_add_f32_e32 v67, v11, v13
	v_add_f32_e32 v0, v31, v0
	v_fmac_f32_e32 v42, 0x3eb8f4ab, v56
	v_fmac_f32_e32 v41, 0xbf65296c, v57
	v_mul_f32_e32 v47, 0xbe8c1d8e, v67
	v_add_f32_e32 v0, v0, v42
	v_fmac_f32_e32 v43, 0xbf06c442, v58
	v_add_f32_e32 v4, v4, v41
	v_sub_f32_e32 v55, v12, v14
	v_mov_b32_e32 v41, v47
	v_add_f32_e32 v68, v7, v9
	v_add_f32_e32 v0, v0, v43
	v_fmac_f32_e32 v44, 0x3f2c7751, v59
	v_fmac_f32_e32 v41, 0x3f763a35, v55
	v_mul_f32_e32 v48, 0x3dbcf732, v68
	v_add_f32_e32 v0, v0, v44
	v_fmac_f32_e32 v45, 0xbf4c4adb, v60
	v_add_f32_e32 v4, v41, v4
	v_sub_f32_e32 v54, v8, v10
	v_mov_b32_e32 v41, v48
	v_add_f32_e32 v0, v0, v45
	v_fmac_f32_e32 v46, 0x3f65296c, v57
	v_fmac_f32_e32 v41, 0xbf7ee86f, v54
	v_add_f32_e32 v0, v0, v46
	v_fmac_f32_e32 v47, 0xbf763a35, v55
	v_add_f32_e32 v41, v4, v41
	v_add_f32_e32 v0, v47, v0
	v_fmac_f32_e32 v48, 0x3f7ee86f, v54
	v_mul_f32_e32 v4, 0xbf59a7d5, v61
	v_add_f32_e32 v42, v0, v48
	v_mov_b32_e32 v0, v4
	v_mul_f32_e32 v43, 0x3ee437d1, v62
	v_fmac_f32_e32 v0, 0x3f06c442, v53
	v_mov_b32_e32 v44, v43
	v_add_f32_e32 v0, v31, v0
	v_fmac_f32_e32 v44, 0xbf65296c, v56
	v_add_f32_e32 v0, v0, v44
	v_mul_f32_e32 v44, 0x3dbcf732, v63
	v_mov_b32_e32 v45, v44
	v_fmac_f32_e32 v45, 0x3f7ee86f, v58
	v_add_f32_e32 v0, v0, v45
	v_mul_f32_e32 v45, 0xbf1a4643, v64
	v_mov_b32_e32 v46, v45
	;; [unrolled: 4-line block ×3, first 2 shown]
	v_fmac_f32_e32 v47, 0x3eb8f4ab, v60
	v_add_f32_e32 v0, v0, v47
	v_mul_f32_e32 v47, 0xbf7ba420, v66
	v_fmac_f32_e32 v4, 0xbf06c442, v53
	v_mov_b32_e32 v48, v47
	v_add_f32_e32 v4, v31, v4
	v_fmac_f32_e32 v43, 0x3f65296c, v56
	v_fmac_f32_e32 v48, 0x3e3c28d5, v57
	v_add_f32_e32 v4, v4, v43
	v_fmac_f32_e32 v44, 0xbf7ee86f, v58
	v_add_f32_e32 v0, v0, v48
	v_mul_f32_e32 v48, 0x3f3d2fb0, v67
	v_add_f32_e32 v4, v4, v44
	v_fmac_f32_e32 v45, 0x3f4c4adb, v59
	v_mov_b32_e32 v49, v48
	v_add_f32_e32 v4, v4, v45
	v_fmac_f32_e32 v46, 0xbeb8f4ab, v60
	v_fmac_f32_e32 v49, 0xbf2c7751, v55
	v_add_f32_e32 v4, v4, v46
	v_fmac_f32_e32 v47, 0xbe3c28d5, v57
	v_add_f32_e32 v0, v49, v0
	v_mul_f32_e32 v49, 0xbe8c1d8e, v68
	v_add_f32_e32 v4, v4, v47
	v_fmac_f32_e32 v48, 0x3f2c7751, v55
	v_mov_b32_e32 v50, v49
	v_add_f32_e32 v4, v48, v4
	v_fmac_f32_e32 v49, 0xbf763a35, v54
	v_mul_f32_e32 v43, 0xbf1a4643, v61
	v_add_f32_e32 v45, v4, v49
	v_mov_b32_e32 v4, v43
	v_mul_f32_e32 v44, 0xbe8c1d8e, v62
	v_fmac_f32_e32 v4, 0x3f4c4adb, v53
	v_mov_b32_e32 v46, v44
	v_add_f32_e32 v4, v31, v4
	v_fmac_f32_e32 v46, 0xbf763a35, v56
	v_add_f32_e32 v4, v4, v46
	v_mul_f32_e32 v46, 0x3f6eb680, v63
	v_mov_b32_e32 v47, v46
	v_fmac_f32_e32 v47, 0x3eb8f4ab, v58
	v_add_f32_e32 v4, v4, v47
	v_mul_f32_e32 v47, 0xbf59a7d5, v64
	v_mov_b32_e32 v48, v47
	v_fmac_f32_e32 v48, 0x3f06c442, v59
	v_add_f32_e32 v4, v4, v48
	v_mul_f32_e32 v48, 0x3dbcf732, v65
	v_mov_b32_e32 v49, v48
	v_fmac_f32_e32 v49, 0xbf7ee86f, v60
	v_fmac_f32_e32 v50, 0x3f763a35, v54
	v_add_f32_e32 v4, v4, v49
	v_mul_f32_e32 v49, 0x3f3d2fb0, v66
	v_fmac_f32_e32 v43, 0xbf4c4adb, v53
	v_add_f32_e32 v0, v0, v50
	v_mov_b32_e32 v50, v49
	v_add_f32_e32 v43, v31, v43
	v_fmac_f32_e32 v44, 0x3f763a35, v56
	v_fmac_f32_e32 v50, 0x3f2c7751, v57
	v_add_f32_e32 v43, v43, v44
	v_fmac_f32_e32 v46, 0xbeb8f4ab, v58
	v_add_f32_e32 v4, v4, v50
	v_mul_f32_e32 v50, 0xbf7ba420, v67
	v_add_f32_e32 v43, v43, v46
	v_fmac_f32_e32 v47, 0xbf06c442, v59
	v_mov_b32_e32 v51, v50
	v_add_f32_e32 v43, v43, v47
	v_fmac_f32_e32 v48, 0x3f7ee86f, v60
	v_fmac_f32_e32 v51, 0x3e3c28d5, v55
	v_add_f32_e32 v43, v43, v48
	v_fmac_f32_e32 v49, 0xbf2c7751, v57
	v_add_f32_e32 v4, v51, v4
	v_mul_f32_e32 v51, 0x3ee437d1, v68
	v_add_f32_e32 v43, v43, v49
	v_fmac_f32_e32 v50, 0xbe3c28d5, v55
	v_mov_b32_e32 v52, v51
	v_add_f32_e32 v43, v50, v43
	v_fmac_f32_e32 v51, 0x3f65296c, v54
	v_mul_f32_e32 v44, 0xbe8c1d8e, v61
	v_add_f32_e32 v47, v43, v51
	v_mov_b32_e32 v43, v44
	v_mul_f32_e32 v46, 0xbf59a7d5, v62
	v_fmac_f32_e32 v43, 0x3f763a35, v53
	v_mov_b32_e32 v48, v46
	v_add_f32_e32 v43, v31, v43
	v_fmac_f32_e32 v48, 0xbf06c442, v56
	v_add_f32_e32 v43, v43, v48
	v_mul_f32_e32 v48, 0x3f3d2fb0, v63
	v_mov_b32_e32 v49, v48
	v_fmac_f32_e32 v49, 0xbf2c7751, v58
	v_add_f32_e32 v43, v43, v49
	v_mul_f32_e32 v49, 0x3ee437d1, v64
	v_mov_b32_e32 v50, v49
	v_fmac_f32_e32 v50, 0x3f65296c, v59
	v_add_f32_e32 v43, v43, v50
	v_mul_f32_e32 v50, 0xbf7ba420, v65
	v_mov_b32_e32 v51, v50
	v_fmac_f32_e32 v51, 0x3e3c28d5, v60
	v_fmac_f32_e32 v52, 0xbf65296c, v54
	v_add_f32_e32 v43, v43, v51
	v_mul_f32_e32 v51, 0x3dbcf732, v66
	v_fmac_f32_e32 v44, 0xbf763a35, v53
	v_add_f32_e32 v4, v4, v52
	;; [unrolled: 48-line block ×4, first 2 shown]
	v_mov_b32_e32 v72, v71
	v_add_f32_e32 v48, v31, v48
	v_fmac_f32_e32 v51, 0xbf4c4adb, v56
	v_fmac_f32_e32 v72, 0x3eb8f4ab, v57
	v_add_f32_e32 v48, v48, v51
	v_fmac_f32_e32 v52, 0x3e3c28d5, v58
	v_add_f32_e32 v46, v46, v72
	v_mul_f32_e32 v72, 0x3dbcf732, v67
	v_add_f32_e32 v48, v48, v52
	v_fmac_f32_e32 v69, 0x3f763a35, v59
	v_mov_b32_e32 v73, v72
	v_add_f32_e32 v48, v48, v69
	v_fmac_f32_e32 v70, 0x3f2c7751, v60
	v_fmac_f32_e32 v73, 0x3f7ee86f, v55
	v_add_f32_e32 v48, v48, v70
	v_fmac_f32_e32 v71, 0xbeb8f4ab, v57
	v_add_f32_e32 v46, v73, v46
	v_mul_f32_e32 v73, 0xbf59a7d5, v68
	v_add_f32_e32 v48, v48, v71
	v_fmac_f32_e32 v72, 0xbf7ee86f, v55
	v_mov_b32_e32 v74, v73
	v_add_f32_e32 v48, v72, v48
	v_fmac_f32_e32 v73, 0xbf06c442, v54
	v_mul_f32_e32 v52, 0x3f3d2fb0, v61
	v_add_f32_e32 v51, v48, v73
	v_mov_b32_e32 v48, v52
	v_mul_f32_e32 v69, 0x3dbcf732, v62
	v_fmac_f32_e32 v52, 0xbf2c7751, v53
	v_fmac_f32_e32 v48, 0x3f2c7751, v53
	v_mov_b32_e32 v70, v69
	v_add_f32_e32 v52, v31, v52
	v_fmac_f32_e32 v69, 0xbf7ee86f, v56
	v_add_f32_e32 v48, v31, v48
	v_fmac_f32_e32 v70, 0x3f7ee86f, v56
	v_add_f32_e32 v52, v52, v69
	v_mul_f32_e32 v69, 0x3f6eb680, v61
	v_add_f32_e32 v48, v48, v70
	v_mul_f32_e32 v70, 0xbf1a4643, v63
	v_mov_b32_e32 v61, v69
	v_mov_b32_e32 v71, v70
	v_fmac_f32_e32 v61, 0x3eb8f4ab, v53
	v_fmac_f32_e32 v69, 0xbeb8f4ab, v53
	;; [unrolled: 1-line block ×3, first 2 shown]
	v_add_f32_e32 v61, v31, v61
	v_add_f32_e32 v53, v31, v69
	v_add_f32_e32 v31, v31, v37
	v_add_f32_e32 v48, v48, v71
	v_mul_f32_e32 v71, 0xbf7ba420, v64
	v_fmac_f32_e32 v70, 0xbf4c4adb, v58
	v_mul_f32_e32 v62, 0x3f3d2fb0, v62
	v_add_f32_e32 v31, v31, v33
	v_mov_b32_e32 v72, v71
	v_add_f32_e32 v52, v52, v70
	v_mov_b32_e32 v70, v62
	v_add_f32_e32 v31, v31, v27
	v_fmac_f32_e32 v72, 0x3e3c28d5, v59
	v_fmac_f32_e32 v70, 0x3f2c7751, v56
	v_mul_f32_e32 v63, 0x3ee437d1, v63
	v_add_f32_e32 v31, v31, v23
	v_add_f32_e32 v48, v48, v72
	v_mul_f32_e32 v72, 0xbf59a7d5, v65
	v_add_f32_e32 v61, v61, v70
	v_mov_b32_e32 v70, v63
	v_add_f32_e32 v31, v31, v19
	v_mov_b32_e32 v73, v72
	v_fmac_f32_e32 v70, 0x3f65296c, v58
	v_mul_f32_e32 v64, 0x3dbcf732, v64
	v_add_f32_e32 v31, v31, v15
	v_fmac_f32_e32 v73, 0xbf06c442, v60
	v_add_f32_e32 v61, v61, v70
	v_mov_b32_e32 v70, v64
	v_add_f32_e32 v31, v31, v11
	v_fmac_f32_e32 v74, 0x3f06c442, v54
	v_add_f32_e32 v48, v48, v73
	v_mul_f32_e32 v73, 0xbe8c1d8e, v66
	v_fmac_f32_e32 v70, 0x3f7ee86f, v59
	v_mul_f32_e32 v65, 0xbe8c1d8e, v65
	v_add_f32_e32 v31, v31, v7
	v_add_f32_e32 v46, v46, v74
	v_mov_b32_e32 v74, v73
	v_add_f32_e32 v61, v61, v70
	v_mov_b32_e32 v70, v65
	v_fmac_f32_e32 v62, 0xbf2c7751, v56
	v_add_f32_e32 v31, v31, v9
	v_fmac_f32_e32 v74, 0xbf763a35, v57
	v_fmac_f32_e32 v70, 0x3f763a35, v60
	v_mul_f32_e32 v66, 0xbf1a4643, v66
	v_add_f32_e32 v53, v53, v62
	v_fmac_f32_e32 v63, 0xbf65296c, v58
	v_add_f32_e32 v31, v13, v31
	v_add_f32_e32 v48, v48, v74
	v_mul_f32_e32 v74, 0x3ee437d1, v67
	v_add_f32_e32 v61, v61, v70
	v_mov_b32_e32 v70, v66
	v_add_f32_e32 v53, v53, v63
	v_fmac_f32_e32 v64, 0xbf7ee86f, v59
	v_add_f32_e32 v31, v17, v31
	v_mov_b32_e32 v75, v74
	v_fmac_f32_e32 v71, 0xbe3c28d5, v59
	v_fmac_f32_e32 v70, 0x3f4c4adb, v57
	v_mul_f32_e32 v67, 0xbf59a7d5, v67
	v_add_f32_e32 v53, v53, v64
	v_fmac_f32_e32 v65, 0xbf763a35, v60
	v_add_f32_e32 v31, v21, v31
	v_fmac_f32_e32 v75, 0xbf65296c, v55
	;; [unrolled: 2-line block ×3, first 2 shown]
	v_add_f32_e32 v61, v61, v70
	v_mov_b32_e32 v70, v67
	v_add_f32_e32 v53, v53, v65
	v_fmac_f32_e32 v66, 0xbf4c4adb, v57
	v_add_f32_e32 v31, v25, v31
	v_add_f32_e32 v48, v75, v48
	v_mul_f32_e32 v75, 0x3f6eb680, v68
	v_add_f32_e32 v52, v52, v72
	v_fmac_f32_e32 v73, 0x3f763a35, v57
	v_fmac_f32_e32 v70, 0x3f06c442, v55
	v_mul_f32_e32 v68, 0xbf7ba420, v68
	v_add_f32_e32 v53, v53, v66
	v_fmac_f32_e32 v67, 0xbf06c442, v55
	v_add_f32_e32 v31, v29, v31
	v_mov_b32_e32 v76, v75
	v_add_f32_e32 v52, v52, v73
	v_fmac_f32_e32 v74, 0x3f65296c, v55
	v_add_f32_e32 v61, v70, v61
	v_mov_b32_e32 v70, v68
	v_add_f32_e32 v53, v67, v53
	v_fmac_f32_e32 v68, 0xbe3c28d5, v54
	v_add_f32_e32 v31, v35, v31
	s_movk_i32 s6, 0x44
	v_fmac_f32_e32 v76, 0xbeb8f4ab, v54
	v_add_f32_e32 v52, v74, v52
	v_fmac_f32_e32 v75, 0x3eb8f4ab, v54
	v_fmac_f32_e32 v70, 0x3e3c28d5, v54
	v_add_f32_e32 v53, v53, v68
	v_add_f32_e32 v54, v39, v31
	v_mad_u32_u24 v31, v3, s6, 0
	v_add_f32_e32 v48, v48, v76
	v_add_f32_e32 v52, v52, v75
	;; [unrolled: 1-line block ×3, first 2 shown]
	ds_write2_b32 v31, v54, v53 offset1:1
	ds_write2_b32 v31, v52, v51 offset0:2 offset1:3
	ds_write2_b32 v31, v50, v49 offset0:4 offset1:5
	;; [unrolled: 1-line block ×7, first 2 shown]
	ds_write_b32 v31, v61 offset:64
.LBB0_13:
	s_or_b64 exec, exec, s[2:3]
	v_lshl_add_u32 v0, v3, 2, 0
	v_add_u32_e32 v4, 0x400, v0
	s_waitcnt lgkmcnt(0)
	; wave barrier
	s_waitcnt lgkmcnt(0)
	ds_read2_b32 v[43:44], v0 offset1:51
	ds_read2_b32 v[49:50], v0 offset0:204 offset1:255
	ds_read2_b32 v[51:52], v4 offset0:152 offset1:203
	;; [unrolled: 1-line block ×4, first 2 shown]
	s_waitcnt vmcnt(16)
	v_add_u32_e32 v31, 0x600, v0
	ds_read2_b32 v[47:48], v31 offset0:126 offset1:177
	s_waitcnt lgkmcnt(0)
	; wave barrier
	s_waitcnt lgkmcnt(0)
	s_and_saveexec_b64 s[2:3], s[0:1]
	s_cbranch_execz .LBB0_15
; %bb.14:
	s_waitcnt vmcnt(15)
	v_add_f32_e32 v53, v32, v38
	s_waitcnt vmcnt(14)
	v_add_f32_e32 v53, v53, v34
	s_waitcnt vmcnt(13)
	v_add_f32_e32 v53, v53, v28
	s_waitcnt vmcnt(12)
	v_add_f32_e32 v53, v53, v24
	s_waitcnt vmcnt(11)
	v_add_f32_e32 v53, v53, v20
	s_waitcnt vmcnt(10)
	v_add_f32_e32 v53, v53, v16
	s_waitcnt vmcnt(9)
	v_add_f32_e32 v53, v53, v12
	s_waitcnt vmcnt(8)
	v_add_f32_e32 v53, v53, v8
	s_waitcnt vmcnt(7)
	v_add_f32_e32 v53, v53, v10
	s_waitcnt vmcnt(6)
	v_add_f32_e32 v53, v14, v53
	s_waitcnt vmcnt(5)
	v_add_f32_e32 v53, v18, v53
	s_waitcnt vmcnt(4)
	v_add_f32_e32 v53, v22, v53
	s_waitcnt vmcnt(3)
	v_add_f32_e32 v53, v26, v53
	s_waitcnt vmcnt(2)
	v_add_f32_e32 v53, v30, v53
	s_waitcnt vmcnt(0)
	v_sub_f32_e32 v37, v37, v39
	v_add_f32_e32 v53, v36, v53
	v_add_f32_e32 v38, v38, v40
	v_mul_f32_e32 v39, 0xbeb8f4ab, v37
	s_mov_b32 s8, 0x3f6eb680
	v_mul_f32_e32 v54, 0xbf2c7751, v37
	s_mov_b32 s6, 0x3f3d2fb0
	;; [unrolled: 2-line block ×8, first 2 shown]
	v_sub_f32_e32 v33, v33, v35
	v_add_f32_e32 v53, v40, v53
	v_fma_f32 v40, v38, s8, -v39
	v_fmac_f32_e32 v39, 0x3f6eb680, v38
	v_fma_f32 v55, v38, s6, -v54
	v_fmac_f32_e32 v54, 0x3f3d2fb0, v38
	v_fma_f32 v57, v38, s1, -v56
	v_fmac_f32_e32 v56, 0x3ee437d1, v38
	v_fma_f32 v59, v38, s0, -v58
	v_fmac_f32_e32 v58, 0x3dbcf732, v38
	v_fma_f32 v61, v38, s7, -v60
	v_fmac_f32_e32 v60, 0xbe8c1d8e, v38
	v_fma_f32 v63, v38, s9, -v62
	v_fmac_f32_e32 v62, 0xbf1a4643, v38
	v_fma_f32 v65, v38, s14, -v64
	v_fmac_f32_e32 v64, 0xbf59a7d5, v38
	v_fma_f32 v66, v38, s15, -v37
	v_fmac_f32_e32 v37, 0xbf7ba420, v38
	v_add_f32_e32 v34, v34, v36
	v_mul_f32_e32 v35, 0xbf2c7751, v33
	v_add_f32_e32 v40, v32, v40
	v_add_f32_e32 v39, v32, v39
	;; [unrolled: 1-line block ×16, first 2 shown]
	v_fma_f32 v36, v34, s6, -v35
	v_fmac_f32_e32 v35, 0x3f3d2fb0, v34
	v_mul_f32_e32 v37, 0xbf7ee86f, v33
	v_add_f32_e32 v35, v39, v35
	v_fma_f32 v38, v34, s0, -v37
	v_fmac_f32_e32 v37, 0x3dbcf732, v34
	v_mul_f32_e32 v39, 0xbf4c4adb, v33
	v_add_f32_e32 v36, v40, v36
	v_add_f32_e32 v37, v54, v37
	v_fma_f32 v40, v34, s9, -v39
	v_fmac_f32_e32 v39, 0xbf1a4643, v34
	v_mul_f32_e32 v54, 0xbe3c28d5, v33
	v_add_f32_e32 v38, v55, v38
	;; [unrolled: 5-line block ×4, first 2 shown]
	v_add_f32_e32 v56, v60, v56
	v_fma_f32 v59, v34, s7, -v58
	v_fmac_f32_e32 v58, 0xbe8c1d8e, v34
	v_mul_f32_e32 v60, 0x3f65296c, v33
	v_mul_f32_e32 v33, 0x3eb8f4ab, v33
	v_sub_f32_e32 v27, v27, v29
	v_add_f32_e32 v58, v62, v58
	v_fma_f32 v62, v34, s8, -v33
	v_fmac_f32_e32 v33, 0x3f6eb680, v34
	v_add_f32_e32 v28, v28, v30
	v_mul_f32_e32 v29, 0xbf65296c, v27
	v_add_f32_e32 v32, v32, v33
	v_fma_f32 v30, v28, s1, -v29
	v_fmac_f32_e32 v29, 0x3ee437d1, v28
	v_mul_f32_e32 v33, 0xbf4c4adb, v27
	v_add_f32_e32 v57, v61, v57
	v_fma_f32 v61, v34, s1, -v60
	v_fmac_f32_e32 v60, 0x3ee437d1, v34
	v_add_f32_e32 v29, v35, v29
	v_fma_f32 v34, v28, s9, -v33
	v_fmac_f32_e32 v33, 0xbf1a4643, v28
	v_mul_f32_e32 v35, 0x3e3c28d5, v27
	v_add_f32_e32 v30, v36, v30
	v_add_f32_e32 v33, v37, v33
	v_fma_f32 v36, v28, s15, -v35
	v_fmac_f32_e32 v35, 0xbf7ba420, v28
	v_mul_f32_e32 v37, 0x3f763a35, v27
	v_add_f32_e32 v34, v38, v34
	v_add_f32_e32 v35, v39, v35
	v_fma_f32 v38, v28, s7, -v37
	v_fmac_f32_e32 v37, 0xbe8c1d8e, v28
	v_mul_f32_e32 v39, 0x3f2c7751, v27
	v_add_f32_e32 v36, v40, v36
	v_add_f32_e32 v37, v54, v37
	v_fma_f32 v40, v28, s6, -v39
	v_fmac_f32_e32 v39, 0x3f3d2fb0, v28
	v_mul_f32_e32 v54, 0xbeb8f4ab, v27
	v_sub_f32_e32 v23, v23, v25
	v_add_f32_e32 v38, v55, v38
	v_add_f32_e32 v39, v56, v39
	v_fma_f32 v55, v28, s8, -v54
	v_fmac_f32_e32 v54, 0x3f6eb680, v28
	v_mul_f32_e32 v56, 0xbf7ee86f, v27
	v_mul_f32_e32 v27, 0xbf06c442, v27
	v_add_f32_e32 v24, v24, v26
	v_mul_f32_e32 v25, 0xbf7ee86f, v23
	v_add_f32_e32 v40, v57, v40
	v_add_f32_e32 v54, v58, v54
	v_fma_f32 v57, v28, s0, -v56
	v_fmac_f32_e32 v56, 0x3dbcf732, v28
	v_fma_f32 v58, v28, s14, -v27
	v_fmac_f32_e32 v27, 0xbf59a7d5, v28
	v_fma_f32 v26, v24, s0, -v25
	v_fmac_f32_e32 v25, 0x3dbcf732, v24
	v_mul_f32_e32 v28, 0xbe3c28d5, v23
	v_add_f32_e32 v26, v30, v26
	v_add_f32_e32 v25, v29, v25
	v_fma_f32 v29, v24, s15, -v28
	v_fmac_f32_e32 v28, 0xbf7ba420, v24
	v_mul_f32_e32 v30, 0x3f763a35, v23
	v_add_f32_e32 v27, v32, v27
	v_add_f32_e32 v28, v33, v28
	v_fma_f32 v32, v24, s7, -v30
	v_fmac_f32_e32 v30, 0xbe8c1d8e, v24
	v_mul_f32_e32 v33, 0x3eb8f4ab, v23
	v_add_f32_e32 v29, v34, v29
	v_add_f32_e32 v30, v35, v30
	v_fma_f32 v34, v24, s8, -v33
	v_fmac_f32_e32 v33, 0x3f6eb680, v24
	v_mul_f32_e32 v35, 0xbf65296c, v23
	v_add_f32_e32 v32, v36, v32
	v_add_f32_e32 v33, v37, v33
	v_fma_f32 v36, v24, s1, -v35
	v_fmac_f32_e32 v35, 0x3ee437d1, v24
	v_mul_f32_e32 v37, 0xbf06c442, v23
	v_sub_f32_e32 v19, v19, v21
	v_add_f32_e32 v34, v38, v34
	v_add_f32_e32 v35, v39, v35
	v_fma_f32 v38, v24, s14, -v37
	v_fmac_f32_e32 v37, 0xbf59a7d5, v24
	v_mul_f32_e32 v39, 0x3f4c4adb, v23
	v_mul_f32_e32 v23, 0x3f2c7751, v23
	v_add_f32_e32 v20, v20, v22
	v_mul_f32_e32 v21, 0xbf763a35, v19
	v_add_f32_e32 v36, v40, v36
	v_add_f32_e32 v37, v54, v37
	v_fma_f32 v40, v24, s9, -v39
	v_fmac_f32_e32 v39, 0xbf1a4643, v24
	v_fma_f32 v54, v24, s6, -v23
	v_fmac_f32_e32 v23, 0x3f3d2fb0, v24
	v_fma_f32 v22, v20, s7, -v21
	v_fmac_f32_e32 v21, 0xbe8c1d8e, v20
	v_mul_f32_e32 v24, 0x3f06c442, v19
	v_add_f32_e32 v22, v26, v22
	;; [unrolled: 38-line block ×5, first 2 shown]
	v_add_f32_e32 v61, v65, v61
	v_add_f32_e32 v60, v64, v60
	v_add_f32_e32 v62, v66, v62
	v_add_f32_e32 v10, v14, v10
	v_add_f32_e32 v9, v13, v9
	v_fma_f32 v13, v8, s8, -v12
	v_fmac_f32_e32 v12, 0x3f6eb680, v8
	v_mul_f32_e32 v14, 0xbf06c442, v7
	v_add_f32_e32 v55, v59, v55
	v_add_f32_e32 v57, v61, v57
	v_add_f32_e32 v56, v60, v56
	v_add_f32_e32 v58, v62, v58
	v_add_f32_e32 v11, v11, v15
	v_add_f32_e32 v12, v16, v12
	v_fma_f32 v15, v8, s14, -v14
	v_fmac_f32_e32 v14, 0xbf59a7d5, v8
	v_mul_f32_e32 v16, 0x3f2c7751, v7
	v_add_f32_e32 v38, v55, v38
	;; [unrolled: 9-line block ×4, first 2 shown]
	v_add_f32_e32 v32, v36, v32
	v_add_f32_e32 v30, v35, v30
	;; [unrolled: 1-line block ×5, first 2 shown]
	v_fma_f32 v21, v8, s1, -v20
	v_fmac_f32_e32 v20, 0x3ee437d1, v8
	v_mul_f32_e32 v22, 0xbf763a35, v7
	v_mul_f32_e32 v7, 0x3f7ee86f, v7
	v_add_f32_e32 v25, v25, v29
	v_add_f32_e32 v27, v27, v32
	;; [unrolled: 1-line block ×6, first 2 shown]
	v_fma_f32 v23, v8, s7, -v22
	v_fmac_f32_e32 v22, 0xbe8c1d8e, v8
	v_fma_f32 v24, v8, s0, -v7
	v_fmac_f32_e32 v7, 0x3dbcf732, v8
	v_lshl_add_u32 v8, v3, 6, v0
	v_add_f32_e32 v21, v25, v21
	v_add_f32_e32 v23, v27, v23
	;; [unrolled: 1-line block ×5, first 2 shown]
	ds_write2_b32 v8, v53, v10 offset1:1
	ds_write2_b32 v8, v13, v15 offset0:2 offset1:3
	ds_write2_b32 v8, v17, v19 offset0:4 offset1:5
	;; [unrolled: 1-line block ×7, first 2 shown]
	ds_write_b32 v8, v9 offset:64
.LBB0_15:
	s_or_b64 exec, exec, s[2:3]
	s_movk_i32 s2, 0xf1
	s_waitcnt vmcnt(8)
	v_mul_lo_u16_sdwa v7, v3, s2 dst_sel:DWORD dst_unused:UNUSED_PAD src0_sel:BYTE_0 src1_sel:DWORD
	s_waitcnt vmcnt(2)
	v_lshrrev_b16_e32 v30, 12, v7
	v_add_u32_e32 v21, 51, v3
	v_mul_lo_u16_e32 v7, 17, v30
	s_waitcnt vmcnt(0)
	v_sub_u16_e32 v40, v3, v7
	v_mul_lo_u16_sdwa v7, v21, s2 dst_sel:DWORD dst_unused:UNUSED_PAD src0_sel:BYTE_0 src1_sel:DWORD
	v_lshrrev_b16_e32 v53, 12, v7
	v_mov_b32_e32 v22, 4
	v_mul_lo_u16_e32 v7, 17, v53
	v_add_u32_e32 v20, 0x66, v3
	v_lshlrev_b32_sdwa v15, v22, v40 dst_sel:DWORD dst_unused:UNUSED_PAD src0_sel:DWORD src1_sel:BYTE_0
	v_sub_u16_e32 v54, v21, v7
	s_load_dwordx2 s[0:1], s[4:5], 0x0
	v_add_u32_e32 v19, 0x99, v3
	s_waitcnt lgkmcnt(0)
	; wave barrier
	s_waitcnt lgkmcnt(0)
	v_lshlrev_b32_sdwa v16, v22, v54 dst_sel:DWORD dst_unused:UNUSED_PAD src0_sel:DWORD src1_sel:BYTE_0
	global_load_dwordx4 v[7:10], v15, s[12:13]
	global_load_dwordx4 v[11:14], v16, s[12:13]
	v_mul_lo_u16_sdwa v15, v20, s2 dst_sel:DWORD dst_unused:UNUSED_PAD src0_sel:BYTE_0 src1_sel:DWORD
	v_lshrrev_b16_e32 v55, 12, v15
	v_mul_lo_u16_sdwa v16, v19, s2 dst_sel:DWORD dst_unused:UNUSED_PAD src0_sel:BYTE_0 src1_sel:DWORD
	v_mul_lo_u16_e32 v15, 17, v55
	v_lshrrev_b16_e32 v57, 12, v16
	v_sub_u16_e32 v56, v20, v15
	v_mul_lo_u16_e32 v23, 17, v57
	v_lshlrev_b32_sdwa v15, v22, v56 dst_sel:DWORD dst_unused:UNUSED_PAD src0_sel:DWORD src1_sel:BYTE_0
	v_sub_u16_e32 v58, v19, v23
	global_load_dwordx4 v[15:18], v15, s[12:13]
	v_lshlrev_b32_sdwa v22, v22, v58 dst_sel:DWORD dst_unused:UNUSED_PAD src0_sel:DWORD src1_sel:BYTE_0
	global_load_dwordx4 v[22:25], v22, s[12:13]
	ds_read2_b32 v[26:27], v0 offset1:51
	ds_read2_b32 v[28:29], v0 offset0:204 offset1:255
	ds_read2_b32 v[32:33], v4 offset0:152 offset1:203
	;; [unrolled: 1-line block ×5, first 2 shown]
	s_waitcnt lgkmcnt(0)
	; wave barrier
	s_waitcnt vmcnt(3) lgkmcnt(0)
	v_mul_f32_e32 v59, v28, v8
	v_mul_f32_e32 v60, v32, v10
	;; [unrolled: 1-line block ×4, first 2 shown]
	s_waitcnt vmcnt(2)
	v_mul_f32_e32 v61, v29, v12
	v_mul_f32_e32 v12, v50, v12
	v_fmac_f32_e32 v59, v49, v7
	v_fmac_f32_e32 v60, v51, v9
	v_mul_f32_e32 v62, v33, v14
	v_mul_f32_e32 v14, v52, v14
	v_fma_f32 v7, v28, v7, -v8
	s_waitcnt vmcnt(1)
	v_mul_f32_e32 v63, v36, v16
	v_mul_f32_e32 v16, v45, v16
	;; [unrolled: 1-line block ×4, first 2 shown]
	s_waitcnt vmcnt(0)
	v_mul_f32_e32 v65, v37, v23
	v_mul_f32_e32 v23, v46, v23
	v_fma_f32 v8, v32, v9, -v10
	v_fmac_f32_e32 v61, v50, v11
	v_fma_f32 v9, v29, v11, -v12
	v_fma_f32 v11, v36, v15, -v16
	v_add_f32_e32 v16, v59, v60
	v_fmac_f32_e32 v62, v52, v13
	v_fma_f32 v10, v33, v13, -v14
	v_fma_f32 v12, v38, v17, -v18
	;; [unrolled: 1-line block ×3, first 2 shown]
	v_add_f32_e32 v18, v26, v7
	v_add_f32_e32 v23, v44, v61
	v_fma_f32 v16, -0.5, v16, v43
	v_mul_f32_e32 v66, v39, v25
	v_mul_f32_e32 v25, v48, v25
	v_fmac_f32_e32 v64, v47, v17
	v_sub_f32_e32 v17, v7, v8
	v_add_f32_e32 v7, v7, v8
	v_add_f32_e32 v8, v18, v8
	;; [unrolled: 1-line block ×3, first 2 shown]
	v_mov_b32_e32 v23, v16
	v_fmac_f32_e32 v63, v45, v15
	v_fmac_f32_e32 v66, v48, v24
	v_fma_f32 v14, v39, v24, -v25
	v_add_f32_e32 v24, v61, v62
	v_fmac_f32_e32 v16, 0x3f5db3d7, v17
	v_fmac_f32_e32 v23, 0xbf5db3d7, v17
	v_add_f32_e32 v17, v27, v9
	v_fma_f32 v7, -0.5, v7, v26
	v_fmac_f32_e32 v44, -0.5, v24
	v_add_f32_e32 v36, v17, v10
	v_add_f32_e32 v17, v63, v64
	v_fmac_f32_e32 v65, v46, v22
	v_sub_f32_e32 v22, v59, v60
	v_sub_f32_e32 v25, v9, v10
	v_mov_b32_e32 v26, v7
	v_mov_b32_e32 v24, v44
	v_fma_f32 v17, -0.5, v17, v41
	v_fmac_f32_e32 v7, 0xbf5db3d7, v22
	v_fmac_f32_e32 v26, 0x3f5db3d7, v22
	;; [unrolled: 1-line block ×4, first 2 shown]
	v_sub_f32_e32 v22, v11, v12
	v_mov_b32_e32 v25, v17
	v_fmac_f32_e32 v25, 0xbf5db3d7, v22
	v_fmac_f32_e32 v17, 0x3f5db3d7, v22
	v_add_f32_e32 v22, v34, v11
	v_add_f32_e32 v11, v11, v12
	v_fma_f32 v11, -0.5, v11, v34
	v_add_f32_e32 v37, v22, v12
	v_sub_f32_e32 v12, v63, v64
	v_mov_b32_e32 v34, v11
	v_add_f32_e32 v22, v65, v66
	v_fmac_f32_e32 v34, 0x3f5db3d7, v12
	v_fmac_f32_e32 v11, 0xbf5db3d7, v12
	v_add_f32_e32 v12, v42, v65
	v_fmac_f32_e32 v42, -0.5, v22
	v_sub_f32_e32 v22, v13, v14
	v_mov_b32_e32 v28, v42
	v_fmac_f32_e32 v28, 0xbf5db3d7, v22
	v_fmac_f32_e32 v42, 0x3f5db3d7, v22
	v_add_f32_e32 v22, v35, v13
	v_add_f32_e32 v13, v13, v14
	v_fmac_f32_e32 v35, -0.5, v13
	v_add_f32_e32 v38, v22, v14
	v_sub_f32_e32 v13, v65, v66
	v_mov_b32_e32 v14, v35
	v_mov_b32_e32 v22, 2
	v_add_f32_e32 v15, v43, v59
	v_add_f32_e32 v9, v9, v10
	v_fmac_f32_e32 v14, 0x3f5db3d7, v13
	v_fmac_f32_e32 v35, 0xbf5db3d7, v13
	v_mul_u32_u24_e32 v13, 0xcc, v30
	v_lshlrev_b32_sdwa v29, v22, v40 dst_sel:DWORD dst_unused:UNUSED_PAD src0_sel:DWORD src1_sel:BYTE_0
	v_add_f32_e32 v15, v15, v60
	v_fmac_f32_e32 v27, -0.5, v9
	v_add3_u32 v13, 0, v13, v29
	v_sub_f32_e32 v9, v61, v62
	v_mov_b32_e32 v10, v27
	ds_write2_b32 v13, v15, v23 offset1:17
	ds_write_b32 v13, v16 offset:136
	v_mul_u32_u24_e32 v15, 0xcc, v53
	v_lshlrev_b32_sdwa v16, v22, v54 dst_sel:DWORD dst_unused:UNUSED_PAD src0_sel:DWORD src1_sel:BYTE_0
	v_fmac_f32_e32 v10, 0x3f5db3d7, v9
	v_fmac_f32_e32 v27, 0xbf5db3d7, v9
	v_add_f32_e32 v9, v41, v63
	v_add3_u32 v30, 0, v15, v16
	v_mul_u32_u24_e32 v15, 0xcc, v55
	v_lshlrev_b32_sdwa v16, v22, v56 dst_sel:DWORD dst_unused:UNUSED_PAD src0_sel:DWORD src1_sel:BYTE_0
	v_add_f32_e32 v9, v9, v64
	v_add3_u32 v39, 0, v15, v16
	ds_write2_b32 v30, v18, v24 offset1:17
	ds_write_b32 v30, v44 offset:136
	ds_write2_b32 v39, v9, v25 offset1:17
	ds_write_b32 v39, v17 offset:136
	v_mul_u32_u24_e32 v9, 0xcc, v57
	v_lshlrev_b32_sdwa v15, v22, v58 dst_sel:DWORD dst_unused:UNUSED_PAD src0_sel:DWORD src1_sel:BYTE_0
	v_add_f32_e32 v12, v12, v66
	v_add3_u32 v9, 0, v9, v15
	ds_write2_b32 v9, v12, v28 offset1:17
	ds_write_b32 v9, v42 offset:136
	s_waitcnt lgkmcnt(0)
	; wave barrier
	s_waitcnt lgkmcnt(0)
	ds_read2_b32 v[15:16], v0 offset1:51
	ds_read2_b32 v[17:18], v0 offset0:102 offset1:153
	ds_read2_b32 v[22:23], v0 offset0:204 offset1:255
	;; [unrolled: 1-line block ×5, first 2 shown]
	s_waitcnt lgkmcnt(0)
	; wave barrier
	s_waitcnt lgkmcnt(0)
	ds_write2_b32 v13, v8, v26 offset1:17
	ds_write_b32 v13, v7 offset:136
	ds_write2_b32 v30, v36, v10 offset1:17
	ds_write_b32 v30, v27 offset:136
	;; [unrolled: 2-line block ×4, first 2 shown]
	v_mul_u32_u24_e32 v7, 5, v3
	v_lshlrev_b32_e32 v30, 3, v7
	s_waitcnt lgkmcnt(0)
	; wave barrier
	s_waitcnt lgkmcnt(0)
	global_load_dwordx4 v[7:10], v30, s[12:13] offset:272
	global_load_dwordx4 v[11:14], v30, s[12:13] offset:288
	global_load_dwordx2 v[26:27], v30, s[12:13] offset:304
	ds_read2_b32 v[34:35], v0 offset1:51
	ds_read2_b32 v[36:37], v0 offset0:102 offset1:153
	ds_read2_b32 v[38:39], v0 offset0:204 offset1:255
	;; [unrolled: 1-line block ×5, first 2 shown]
	s_waitcnt lgkmcnt(0)
	; wave barrier
	s_waitcnt vmcnt(2) lgkmcnt(0)
	v_mul_f32_e32 v30, v36, v8
	v_fmac_f32_e32 v30, v17, v7
	v_mul_f32_e32 v17, v17, v8
	v_fma_f32 v17, v36, v7, -v17
	v_mul_f32_e32 v36, v38, v10
	v_fmac_f32_e32 v36, v22, v9
	v_mul_f32_e32 v22, v22, v10
	v_fma_f32 v22, v38, v9, -v22
	s_waitcnt vmcnt(1)
	v_mul_f32_e32 v38, v40, v12
	v_fmac_f32_e32 v38, v24, v11
	v_mul_f32_e32 v24, v24, v12
	v_fma_f32 v24, v40, v11, -v24
	v_mul_f32_e32 v40, v42, v14
	v_fmac_f32_e32 v40, v28, v13
	v_mul_f32_e32 v28, v28, v14
	v_fma_f32 v28, v42, v13, -v28
	s_waitcnt vmcnt(0)
	v_mul_f32_e32 v42, v44, v27
	v_fmac_f32_e32 v42, v32, v26
	v_mul_f32_e32 v32, v32, v27
	v_fma_f32 v32, v44, v26, -v32
	v_mul_f32_e32 v44, v37, v8
	v_mul_f32_e32 v8, v18, v8
	v_fmac_f32_e32 v44, v18, v7
	v_fma_f32 v7, v37, v7, -v8
	v_mul_f32_e32 v8, v39, v10
	v_mul_f32_e32 v10, v23, v10
	v_fmac_f32_e32 v8, v23, v9
	;; [unrolled: 4-line block ×3, first 2 shown]
	v_fma_f32 v11, v41, v11, -v12
	v_mul_f32_e32 v12, v43, v14
	v_mul_f32_e32 v14, v29, v14
	v_add_f32_e32 v25, v36, v40
	v_fmac_f32_e32 v12, v29, v13
	v_fma_f32 v13, v43, v13, -v14
	v_mul_f32_e32 v14, v45, v27
	v_mul_f32_e32 v18, v33, v27
	v_add_f32_e32 v23, v15, v36
	v_fma_f32 v15, -0.5, v25, v15
	v_fmac_f32_e32 v14, v33, v26
	v_fma_f32 v18, v45, v26, -v18
	v_sub_f32_e32 v25, v22, v28
	v_mov_b32_e32 v26, v15
	v_fmac_f32_e32 v26, 0xbf5db3d7, v25
	v_fmac_f32_e32 v15, 0x3f5db3d7, v25
	v_add_f32_e32 v25, v34, v22
	v_add_f32_e32 v22, v22, v28
	v_fma_f32 v22, -0.5, v22, v34
	v_add_f32_e32 v25, v25, v28
	v_sub_f32_e32 v27, v36, v40
	v_mov_b32_e32 v28, v22
	v_add_f32_e32 v29, v38, v42
	v_fmac_f32_e32 v28, 0x3f5db3d7, v27
	v_fmac_f32_e32 v22, 0xbf5db3d7, v27
	v_add_f32_e32 v27, v30, v38
	v_fmac_f32_e32 v30, -0.5, v29
	v_sub_f32_e32 v29, v24, v32
	v_mov_b32_e32 v33, v30
	v_fmac_f32_e32 v33, 0xbf5db3d7, v29
	v_fmac_f32_e32 v30, 0x3f5db3d7, v29
	v_add_f32_e32 v29, v17, v24
	v_add_f32_e32 v24, v24, v32
	v_fmac_f32_e32 v17, -0.5, v24
	v_add_f32_e32 v29, v29, v32
	v_sub_f32_e32 v24, v38, v42
	v_mov_b32_e32 v32, v17
	v_fmac_f32_e32 v32, 0x3f5db3d7, v24
	v_fmac_f32_e32 v17, 0xbf5db3d7, v24
	v_mul_f32_e32 v34, 0xbf5db3d7, v32
	v_mul_f32_e32 v32, 0.5, v32
	v_add_f32_e32 v23, v23, v40
	v_add_f32_e32 v27, v27, v42
	v_mul_f32_e32 v37, 0xbf5db3d7, v17
	v_fmac_f32_e32 v32, 0x3f5db3d7, v33
	v_mul_f32_e32 v17, -0.5, v17
	v_add_f32_e32 v24, v23, v27
	v_fmac_f32_e32 v34, 0.5, v33
	v_add_f32_e32 v33, v28, v32
	v_fmac_f32_e32 v17, 0x3f5db3d7, v30
	v_sub_f32_e32 v23, v23, v27
	v_sub_f32_e32 v27, v28, v32
	v_add_f32_e32 v28, v8, v12
	v_fmac_f32_e32 v37, -0.5, v30
	v_add_f32_e32 v30, v22, v17
	v_sub_f32_e32 v22, v22, v17
	v_add_f32_e32 v17, v16, v8
	v_fmac_f32_e32 v16, -0.5, v28
	v_add_f32_e32 v39, v25, v29
	v_sub_f32_e32 v25, v25, v29
	v_sub_f32_e32 v28, v9, v13
	v_mov_b32_e32 v29, v16
	v_fmac_f32_e32 v29, 0xbf5db3d7, v28
	v_fmac_f32_e32 v16, 0x3f5db3d7, v28
	v_add_f32_e32 v28, v35, v9
	v_add_f32_e32 v9, v9, v13
	v_fmac_f32_e32 v35, -0.5, v9
	v_add_f32_e32 v17, v17, v12
	v_sub_f32_e32 v8, v8, v12
	v_mov_b32_e32 v9, v35
	v_add_f32_e32 v12, v10, v14
	v_fmac_f32_e32 v9, 0x3f5db3d7, v8
	v_fmac_f32_e32 v35, 0xbf5db3d7, v8
	v_add_f32_e32 v8, v44, v10
	v_fmac_f32_e32 v44, -0.5, v12
	v_add_f32_e32 v28, v28, v13
	v_sub_f32_e32 v12, v11, v18
	v_mov_b32_e32 v13, v44
	v_fmac_f32_e32 v13, 0xbf5db3d7, v12
	v_fmac_f32_e32 v44, 0x3f5db3d7, v12
	v_add_f32_e32 v12, v7, v11
	v_add_f32_e32 v11, v11, v18
	v_fmac_f32_e32 v7, -0.5, v11
	v_sub_f32_e32 v10, v10, v14
	v_mov_b32_e32 v11, v7
	v_fmac_f32_e32 v11, 0x3f5db3d7, v10
	v_fmac_f32_e32 v7, 0xbf5db3d7, v10
	v_add_f32_e32 v8, v8, v14
	v_mul_f32_e32 v14, 0xbf5db3d7, v11
	v_mul_f32_e32 v32, 0xbf5db3d7, v7
	v_fmac_f32_e32 v14, 0.5, v13
	v_fmac_f32_e32 v32, -0.5, v44
	v_mul_f32_e32 v11, 0.5, v11
	v_mul_f32_e32 v7, -0.5, v7
	v_add_f32_e32 v36, v26, v34
	v_add_f32_e32 v38, v15, v37
	v_sub_f32_e32 v15, v15, v37
	v_add_f32_e32 v12, v12, v18
	v_add_f32_e32 v10, v17, v8
	;; [unrolled: 1-line block ×3, first 2 shown]
	v_fmac_f32_e32 v11, 0x3f5db3d7, v13
	v_fmac_f32_e32 v7, 0x3f5db3d7, v44
	v_sub_f32_e32 v8, v17, v8
	v_sub_f32_e32 v13, v29, v14
	;; [unrolled: 1-line block ×4, first 2 shown]
	v_add_f32_e32 v34, v16, v32
	v_add_f32_e32 v37, v28, v12
	;; [unrolled: 1-line block ×4, first 2 shown]
	v_sub_f32_e32 v28, v28, v12
	v_sub_f32_e32 v29, v9, v11
	;; [unrolled: 1-line block ×3, first 2 shown]
	ds_write2_b32 v0, v24, v36 offset1:51
	ds_write2_b32 v0, v38, v23 offset0:102 offset1:153
	ds_write2_b32 v0, v26, v15 offset0:204 offset1:255
	;; [unrolled: 1-line block ×5, first 2 shown]
	s_waitcnt lgkmcnt(0)
	; wave barrier
	s_waitcnt lgkmcnt(0)
	ds_read2_b32 v[9:10], v0 offset1:51
	ds_read2_b32 v[15:16], v4 offset0:50 offset1:101
	ds_read2_b32 v[11:12], v0 offset0:102 offset1:153
	;; [unrolled: 1-line block ×5, first 2 shown]
	s_waitcnt lgkmcnt(0)
	; wave barrier
	s_waitcnt lgkmcnt(0)
	ds_write2_b32 v0, v39, v33 offset1:51
	ds_write2_b32 v0, v30, v25 offset0:102 offset1:153
	ds_write2_b32 v0, v27, v22 offset0:204 offset1:255
	;; [unrolled: 1-line block ×5, first 2 shown]
	s_waitcnt lgkmcnt(0)
	; wave barrier
	s_waitcnt lgkmcnt(0)
	s_and_saveexec_b64 s[2:3], vcc
	s_cbranch_execz .LBB0_17
; %bb.16:
	v_mov_b32_e32 v4, 0
	v_lshlrev_b64 v[22:23], 3, v[3:4]
	v_mov_b32_e32 v4, s13
	v_add_co_u32_e32 v22, vcc, s12, v22
	v_addc_co_u32_e32 v23, vcc, v4, v23, vcc
	v_add_co_u32_e32 v32, vcc, 0x1000, v22
	global_load_dwordx2 v[24:25], v[22:23], off offset:3536
	global_load_dwordx2 v[26:27], v[22:23], off offset:3128
	global_load_dwordx2 v[28:29], v[22:23], off offset:2720
	global_load_dwordx2 v[30:31], v[22:23], off offset:2312
	v_addc_co_u32_e32 v33, vcc, 0, v23, vcc
	global_load_dwordx2 v[34:35], v[32:33], off offset:256
	global_load_dwordx2 v[36:37], v[22:23], off offset:3944
	v_mul_lo_u32 v49, s1, v5
	v_mul_lo_u32 v6, s0, v6
	v_mad_u64_u32 v[4:5], s[0:1], s0, v5, 0
	v_mad_u64_u32 v[40:41], s[0:1], s20, v3, 0
	ds_read2_b32 v[22:23], v0 offset0:204 offset1:255
	v_add_u32_e32 v42, 0x600, v0
	ds_read2_b32 v[32:33], v0 offset0:102 offset1:153
	v_add_u32_e32 v48, 0x400, v0
	ds_read2_b32 v[38:39], v0 offset1:51
	v_mov_b32_e32 v0, v41
	v_mad_u64_u32 v[46:47], s[0:1], s21, v3, v[0:1]
	ds_read2_b32 v[42:43], v42 offset0:126 offset1:177
	ds_read2_b32 v[44:45], v48 offset0:152 offset1:203
	;; [unrolled: 1-line block ×3, first 2 shown]
	v_add3_u32 v5, v5, v6, v49
	v_mov_b32_e32 v41, v46
	v_lshlrev_b64 v[4:5], 3, v[4:5]
	v_mov_b32_e32 v50, s11
	v_add_co_u32_e32 v4, vcc, s10, v4
	v_addc_co_u32_e32 v5, vcc, v50, v5, vcc
	s_mov_b32 s3, 0xd62b80d7
	s_movk_i32 s2, 0x132
	s_waitcnt vmcnt(5)
	v_mul_f32_e32 v0, v18, v25
	s_waitcnt lgkmcnt(1)
	v_mul_f32_e32 v6, v45, v25
	s_waitcnt vmcnt(3)
	v_mul_f32_e32 v46, v16, v29
	s_waitcnt lgkmcnt(0)
	v_mul_f32_e32 v29, v48, v29
	v_mul_f32_e32 v25, v17, v27
	;; [unrolled: 1-line block ×3, first 2 shown]
	s_waitcnt vmcnt(2)
	v_mul_f32_e32 v49, v15, v31
	v_mul_f32_e32 v31, v47, v31
	v_fma_f32 v0, v45, v24, -v0
	v_fmac_f32_e32 v6, v18, v24
	v_fma_f32 v24, v48, v28, -v46
	v_fmac_f32_e32 v29, v16, v28
	s_waitcnt vmcnt(1)
	v_mul_f32_e32 v28, v14, v35
	v_fma_f32 v18, v44, v26, -v25
	v_fmac_f32_e32 v27, v17, v26
	v_fma_f32 v26, v47, v30, -v49
	v_fmac_f32_e32 v31, v15, v30
	s_waitcnt vmcnt(0)
	v_mul_f32_e32 v30, v13, v37
	v_mul_f32_e32 v37, v42, v37
	v_sub_f32_e32 v16, v33, v0
	v_fma_f32 v0, v43, v34, -v28
	v_fmac_f32_e32 v37, v13, v36
	v_fma_f32 v13, v33, 2.0, -v16
	v_sub_f32_e32 v33, v23, v0
	v_lshlrev_b64 v[0:1], 3, v[1:2]
	v_mul_f32_e32 v35, v43, v35
	v_fmac_f32_e32 v35, v14, v34
	v_add_co_u32_e32 v14, vcc, v4, v0
	v_add_u32_e32 v2, 0x132, v3
	v_sub_f32_e32 v15, v12, v6
	v_fma_f32 v6, v42, v36, -v30
	v_addc_co_u32_e32 v36, vcc, v5, v1, vcc
	v_lshlrev_b64 v[0:1], 3, v[40:41]
	v_mad_u64_u32 v[4:5], s[0:1], s20, v2, 0
	v_sub_f32_e32 v17, v11, v27
	v_sub_f32_e32 v27, v38, v26
	;; [unrolled: 1-line block ×3, first 2 shown]
	v_add_co_u32_e32 v0, vcc, v14, v0
	v_fma_f32 v31, v38, 2.0, -v27
	v_fma_f32 v30, v9, 2.0, -v26
	v_addc_co_u32_e32 v1, vcc, v36, v1, vcc
	global_store_dwordx2 v[0:1], v[30:31], off
	v_mov_b32_e32 v0, v5
	v_mad_u64_u32 v[0:1], s[0:1], s21, v2, v[0:1]
	v_mad_u64_u32 v[1:2], s[0:1], s20, v21, 0
	v_sub_f32_e32 v18, v32, v18
	v_sub_f32_e32 v25, v39, v24
	;; [unrolled: 1-line block ×3, first 2 shown]
	v_fma_f32 v29, v32, 2.0, -v18
	v_sub_f32_e32 v32, v8, v35
	v_sub_f32_e32 v35, v22, v6
	;; [unrolled: 1-line block ×3, first 2 shown]
	v_mov_b32_e32 v5, v0
	v_mov_b32_e32 v0, v2
	v_fma_f32 v9, v23, 2.0, -v33
	v_fma_f32 v23, v22, 2.0, -v35
	;; [unrolled: 1-line block ×3, first 2 shown]
	v_mad_u64_u32 v[6:7], s[0:1], s21, v21, v[0:1]
	v_lshlrev_b64 v[4:5], 3, v[4:5]
	v_fma_f32 v28, v11, 2.0, -v17
	v_add_co_u32_e32 v4, vcc, v14, v4
	v_addc_co_u32_e32 v5, vcc, v36, v5, vcc
	v_mov_b32_e32 v2, v6
	v_add_u32_e32 v6, 0x165, v3
	global_store_dwordx2 v[4:5], v[26:27], off
	v_mad_u64_u32 v[4:5], s[0:1], s20, v6, 0
	v_lshlrev_b64 v[0:1], 3, v[1:2]
	v_fma_f32 v11, v39, 2.0, -v25
	v_mov_b32_e32 v2, v5
	v_mad_u64_u32 v[5:6], s[0:1], s21, v6, v[2:3]
	v_mad_u64_u32 v[6:7], s[0:1], s20, v20, 0
	v_add_co_u32_e32 v0, vcc, v14, v0
	v_fma_f32 v10, v10, 2.0, -v24
	v_addc_co_u32_e32 v1, vcc, v36, v1, vcc
	v_mov_b32_e32 v2, v7
	global_store_dwordx2 v[0:1], v[10:11], off
	v_lshlrev_b64 v[0:1], 3, v[4:5]
	v_mad_u64_u32 v[4:5], s[0:1], s21, v20, v[2:3]
	v_add_co_u32_e32 v0, vcc, v14, v0
	v_addc_co_u32_e32 v1, vcc, v36, v1, vcc
	v_mov_b32_e32 v7, v4
	global_store_dwordx2 v[0:1], v[24:25], off
	v_lshlrev_b64 v[0:1], 3, v[6:7]
	v_add_u32_e32 v6, 0x198, v3
	v_mad_u64_u32 v[4:5], s[0:1], s20, v6, 0
	v_add_co_u32_e32 v0, vcc, v14, v0
	v_mov_b32_e32 v2, v5
	v_mad_u64_u32 v[5:6], s[0:1], s21, v6, v[2:3]
	v_mad_u64_u32 v[6:7], s[0:1], s20, v19, 0
	v_addc_co_u32_e32 v1, vcc, v36, v1, vcc
	v_mov_b32_e32 v2, v7
	global_store_dwordx2 v[0:1], v[28:29], off
	v_lshlrev_b64 v[0:1], 3, v[4:5]
	v_mad_u64_u32 v[4:5], s[0:1], s21, v19, v[2:3]
	v_add_co_u32_e32 v0, vcc, v14, v0
	v_addc_co_u32_e32 v1, vcc, v36, v1, vcc
	v_mov_b32_e32 v7, v4
	global_store_dwordx2 v[0:1], v[17:18], off
	v_lshlrev_b64 v[0:1], 3, v[6:7]
	v_add_u32_e32 v6, 0x1cb, v3
	v_mad_u64_u32 v[4:5], s[0:1], s20, v6, 0
	v_add_u32_e32 v7, 0xcc, v3
	v_mul_hi_u32 v10, v7, s3
	v_mov_b32_e32 v2, v5
	v_mad_u64_u32 v[5:6], s[0:1], s21, v6, v[2:3]
	v_lshrrev_b32_e32 v2, 8, v10
	v_mad_u32_u24 v10, v2, s2, v7
	v_mad_u64_u32 v[6:7], s[0:1], s20, v10, 0
	v_add_co_u32_e32 v0, vcc, v14, v0
	v_fma_f32 v12, v12, 2.0, -v15
	v_addc_co_u32_e32 v1, vcc, v36, v1, vcc
	v_mov_b32_e32 v2, v7
	global_store_dwordx2 v[0:1], v[12:13], off
	v_lshlrev_b64 v[0:1], 3, v[4:5]
	v_mad_u64_u32 v[4:5], s[0:1], s21, v10, v[2:3]
	v_add_co_u32_e32 v0, vcc, v14, v0
	v_addc_co_u32_e32 v1, vcc, v36, v1, vcc
	v_mov_b32_e32 v7, v4
	global_store_dwordx2 v[0:1], v[15:16], off
	v_lshlrev_b64 v[0:1], 3, v[6:7]
	v_add_u32_e32 v6, 0x132, v10
	v_mad_u64_u32 v[4:5], s[0:1], s20, v6, 0
	v_add_co_u32_e32 v0, vcc, v14, v0
	v_mov_b32_e32 v2, v5
	v_mad_u64_u32 v[5:6], s[0:1], s21, v6, v[2:3]
	v_add_u32_e32 v2, 0xff, v3
	v_mul_hi_u32 v3, v2, s3
	v_addc_co_u32_e32 v1, vcc, v36, v1, vcc
	global_store_dwordx2 v[0:1], v[22:23], off
	v_lshrrev_b32_e32 v3, 8, v3
	v_lshlrev_b64 v[0:1], 3, v[4:5]
	v_mad_u32_u24 v5, v3, s2, v2
	v_mad_u64_u32 v[2:3], s[0:1], s20, v5, 0
	v_add_u32_e32 v6, 0x132, v5
	v_add_co_u32_e32 v0, vcc, v14, v0
	v_mad_u64_u32 v[3:4], s[0:1], s21, v5, v[3:4]
	v_mad_u64_u32 v[4:5], s[0:1], s20, v6, 0
	v_addc_co_u32_e32 v1, vcc, v36, v1, vcc
	global_store_dwordx2 v[0:1], v[34:35], off
	v_lshlrev_b64 v[0:1], 3, v[2:3]
	v_mov_b32_e32 v2, v5
	v_mad_u64_u32 v[2:3], s[0:1], s21, v6, v[2:3]
	v_add_co_u32_e32 v0, vcc, v14, v0
	v_fma_f32 v8, v8, 2.0, -v32
	v_addc_co_u32_e32 v1, vcc, v36, v1, vcc
	v_mov_b32_e32 v5, v2
	global_store_dwordx2 v[0:1], v[8:9], off
	v_lshlrev_b64 v[0:1], 3, v[4:5]
	v_add_co_u32_e32 v0, vcc, v14, v0
	v_addc_co_u32_e32 v1, vcc, v36, v1, vcc
	global_store_dwordx2 v[0:1], v[32:33], off
.LBB0_17:
	s_endpgm
	.section	.rodata,"a",@progbits
	.p2align	6, 0x0
	.amdhsa_kernel fft_rtc_back_len612_factors_17_3_6_2_wgs_51_tpt_51_halfLds_sp_op_CI_CI_sbrr_dirReg
		.amdhsa_group_segment_fixed_size 0
		.amdhsa_private_segment_fixed_size 0
		.amdhsa_kernarg_size 104
		.amdhsa_user_sgpr_count 6
		.amdhsa_user_sgpr_private_segment_buffer 1
		.amdhsa_user_sgpr_dispatch_ptr 0
		.amdhsa_user_sgpr_queue_ptr 0
		.amdhsa_user_sgpr_kernarg_segment_ptr 1
		.amdhsa_user_sgpr_dispatch_id 0
		.amdhsa_user_sgpr_flat_scratch_init 0
		.amdhsa_user_sgpr_private_segment_size 0
		.amdhsa_uses_dynamic_stack 0
		.amdhsa_system_sgpr_private_segment_wavefront_offset 0
		.amdhsa_system_sgpr_workgroup_id_x 1
		.amdhsa_system_sgpr_workgroup_id_y 0
		.amdhsa_system_sgpr_workgroup_id_z 0
		.amdhsa_system_sgpr_workgroup_info 0
		.amdhsa_system_vgpr_workitem_id 0
		.amdhsa_next_free_vgpr 77
		.amdhsa_next_free_sgpr 32
		.amdhsa_reserve_vcc 1
		.amdhsa_reserve_flat_scratch 0
		.amdhsa_float_round_mode_32 0
		.amdhsa_float_round_mode_16_64 0
		.amdhsa_float_denorm_mode_32 3
		.amdhsa_float_denorm_mode_16_64 3
		.amdhsa_dx10_clamp 1
		.amdhsa_ieee_mode 1
		.amdhsa_fp16_overflow 0
		.amdhsa_exception_fp_ieee_invalid_op 0
		.amdhsa_exception_fp_denorm_src 0
		.amdhsa_exception_fp_ieee_div_zero 0
		.amdhsa_exception_fp_ieee_overflow 0
		.amdhsa_exception_fp_ieee_underflow 0
		.amdhsa_exception_fp_ieee_inexact 0
		.amdhsa_exception_int_div_zero 0
	.end_amdhsa_kernel
	.text
.Lfunc_end0:
	.size	fft_rtc_back_len612_factors_17_3_6_2_wgs_51_tpt_51_halfLds_sp_op_CI_CI_sbrr_dirReg, .Lfunc_end0-fft_rtc_back_len612_factors_17_3_6_2_wgs_51_tpt_51_halfLds_sp_op_CI_CI_sbrr_dirReg
                                        ; -- End function
	.section	.AMDGPU.csdata,"",@progbits
; Kernel info:
; codeLenInByte = 10588
; NumSgprs: 36
; NumVgprs: 77
; ScratchSize: 0
; MemoryBound: 0
; FloatMode: 240
; IeeeMode: 1
; LDSByteSize: 0 bytes/workgroup (compile time only)
; SGPRBlocks: 4
; VGPRBlocks: 19
; NumSGPRsForWavesPerEU: 36
; NumVGPRsForWavesPerEU: 77
; Occupancy: 3
; WaveLimiterHint : 1
; COMPUTE_PGM_RSRC2:SCRATCH_EN: 0
; COMPUTE_PGM_RSRC2:USER_SGPR: 6
; COMPUTE_PGM_RSRC2:TRAP_HANDLER: 0
; COMPUTE_PGM_RSRC2:TGID_X_EN: 1
; COMPUTE_PGM_RSRC2:TGID_Y_EN: 0
; COMPUTE_PGM_RSRC2:TGID_Z_EN: 0
; COMPUTE_PGM_RSRC2:TIDIG_COMP_CNT: 0
	.type	__hip_cuid_52139cc5b29d9860,@object ; @__hip_cuid_52139cc5b29d9860
	.section	.bss,"aw",@nobits
	.globl	__hip_cuid_52139cc5b29d9860
__hip_cuid_52139cc5b29d9860:
	.byte	0                               ; 0x0
	.size	__hip_cuid_52139cc5b29d9860, 1

	.ident	"AMD clang version 19.0.0git (https://github.com/RadeonOpenCompute/llvm-project roc-6.4.0 25133 c7fe45cf4b819c5991fe208aaa96edf142730f1d)"
	.section	".note.GNU-stack","",@progbits
	.addrsig
	.addrsig_sym __hip_cuid_52139cc5b29d9860
	.amdgpu_metadata
---
amdhsa.kernels:
  - .args:
      - .actual_access:  read_only
        .address_space:  global
        .offset:         0
        .size:           8
        .value_kind:     global_buffer
      - .offset:         8
        .size:           8
        .value_kind:     by_value
      - .actual_access:  read_only
        .address_space:  global
        .offset:         16
        .size:           8
        .value_kind:     global_buffer
      - .actual_access:  read_only
        .address_space:  global
        .offset:         24
        .size:           8
        .value_kind:     global_buffer
      - .actual_access:  read_only
        .address_space:  global
        .offset:         32
        .size:           8
        .value_kind:     global_buffer
      - .offset:         40
        .size:           8
        .value_kind:     by_value
      - .actual_access:  read_only
        .address_space:  global
        .offset:         48
        .size:           8
        .value_kind:     global_buffer
      - .actual_access:  read_only
        .address_space:  global
        .offset:         56
        .size:           8
        .value_kind:     global_buffer
      - .offset:         64
        .size:           4
        .value_kind:     by_value
      - .actual_access:  read_only
        .address_space:  global
        .offset:         72
        .size:           8
        .value_kind:     global_buffer
      - .actual_access:  read_only
        .address_space:  global
        .offset:         80
        .size:           8
        .value_kind:     global_buffer
      - .actual_access:  read_only
        .address_space:  global
        .offset:         88
        .size:           8
        .value_kind:     global_buffer
      - .actual_access:  write_only
        .address_space:  global
        .offset:         96
        .size:           8
        .value_kind:     global_buffer
    .group_segment_fixed_size: 0
    .kernarg_segment_align: 8
    .kernarg_segment_size: 104
    .language:       OpenCL C
    .language_version:
      - 2
      - 0
    .max_flat_workgroup_size: 51
    .name:           fft_rtc_back_len612_factors_17_3_6_2_wgs_51_tpt_51_halfLds_sp_op_CI_CI_sbrr_dirReg
    .private_segment_fixed_size: 0
    .sgpr_count:     36
    .sgpr_spill_count: 0
    .symbol:         fft_rtc_back_len612_factors_17_3_6_2_wgs_51_tpt_51_halfLds_sp_op_CI_CI_sbrr_dirReg.kd
    .uniform_work_group_size: 1
    .uses_dynamic_stack: false
    .vgpr_count:     77
    .vgpr_spill_count: 0
    .wavefront_size: 64
amdhsa.target:   amdgcn-amd-amdhsa--gfx906
amdhsa.version:
  - 1
  - 2
...

	.end_amdgpu_metadata
